;; amdgpu-corpus repo=ROCm/rocFFT kind=compiled arch=gfx1201 opt=O3
	.text
	.amdgcn_target "amdgcn-amd-amdhsa--gfx1201"
	.amdhsa_code_object_version 6
	.protected	bluestein_single_back_len33_dim1_sp_op_CI_CI ; -- Begin function bluestein_single_back_len33_dim1_sp_op_CI_CI
	.globl	bluestein_single_back_len33_dim1_sp_op_CI_CI
	.p2align	8
	.type	bluestein_single_back_len33_dim1_sp_op_CI_CI,@function
bluestein_single_back_len33_dim1_sp_op_CI_CI: ; @bluestein_single_back_len33_dim1_sp_op_CI_CI
; %bb.0:
	s_load_b128 s[4:7], s[0:1], 0x28
	v_mul_u32_u24_e32 v1, 0x1746, v0
	s_mov_b32 s2, exec_lo
	s_delay_alu instid0(VALU_DEP_1) | instskip(NEXT) | instid1(VALU_DEP_1)
	v_lshrrev_b32_e32 v1, 16, v1
	v_mad_co_u64_u32 v[36:37], null, ttmp9, 23, v[1:2]
	v_mov_b32_e32 v37, 0
	s_wait_kmcnt 0x0
	s_delay_alu instid0(VALU_DEP_1)
	v_cmpx_gt_u64_e64 s[4:5], v[36:37]
	s_cbranch_execz .LBB0_15
; %bb.1:
	v_mul_hi_u32 v2, 0xb21642c9, v36
	v_mul_lo_u16 v1, v1, 11
	s_clause 0x1
	s_load_b64 s[12:13], s[0:1], 0x0
	s_load_b64 s[4:5], s[0:1], 0x38
	s_delay_alu instid0(VALU_DEP_1) | instskip(NEXT) | instid1(VALU_DEP_3)
	v_sub_nc_u16 v0, v0, v1
	v_lshrrev_b32_e32 v2, 4, v2
	s_delay_alu instid0(VALU_DEP_2) | instskip(SKIP_1) | instid1(VALU_DEP_3)
	v_and_b32_e32 v41, 0xffff, v0
	v_cmp_gt_u16_e32 vcc_lo, 3, v0
	v_mul_lo_u32 v2, v2, 23
	s_delay_alu instid0(VALU_DEP_3) | instskip(SKIP_2) | instid1(VALU_DEP_4)
	v_lshlrev_b32_e32 v43, 3, v41
	v_or_b32_e32 v39, 12, v41
	v_or_b32_e32 v40, 24, v41
	v_sub_nc_u32_e32 v1, v36, v2
	s_delay_alu instid0(VALU_DEP_1) | instskip(NEXT) | instid1(VALU_DEP_1)
	v_mul_u32_u24_e32 v42, 33, v1
	v_lshlrev_b32_e32 v44, 3, v42
	s_and_saveexec_b32 s3, vcc_lo
	s_cbranch_execz .LBB0_3
; %bb.2:
	s_load_b64 s[8:9], s[0:1], 0x18
	s_delay_alu instid0(VALU_DEP_1)
	v_lshl_add_u32 v57, v41, 3, v44
	s_wait_kmcnt 0x0
	s_load_b128 s[8:11], s[8:9], 0x0
	s_wait_kmcnt 0x0
	v_mad_co_u64_u32 v[0:1], null, s10, v36, 0
	v_mad_co_u64_u32 v[2:3], null, s8, v41, 0
	v_mad_co_u64_u32 v[4:5], null, s8, v39, 0
	s_delay_alu instid0(VALU_DEP_2) | instskip(SKIP_1) | instid1(VALU_DEP_3)
	v_mad_co_u64_u32 v[6:7], null, s11, v36, v[1:2]
	v_mad_co_u64_u32 v[7:8], null, s8, v40, 0
	;; [unrolled: 1-line block ×3, first 2 shown]
	s_clause 0x2
	global_load_b64 v[10:11], v43, s[12:13]
	global_load_b64 v[12:13], v43, s[12:13] offset:24
	global_load_b64 v[14:15], v43, s[12:13] offset:96
	s_mul_u64 s[10:11], s[8:9], 24
	v_dual_mov_b32 v1, v6 :: v_dual_mov_b32 v6, v8
	s_delay_alu instid0(VALU_DEP_1) | instskip(NEXT) | instid1(VALU_DEP_2)
	v_lshlrev_b64_e32 v[0:1], 3, v[0:1]
	v_mad_co_u64_u32 v[16:17], null, s9, v40, v[6:7]
	v_mov_b32_e32 v3, v9
	v_mad_co_u64_u32 v[8:9], null, s9, v39, v[5:6]
	s_delay_alu instid0(VALU_DEP_4) | instskip(NEXT) | instid1(VALU_DEP_1)
	v_add_co_u32 v20, s2, s6, v0
	v_add_co_ci_u32_e64 v21, s2, s7, v1, s2
	s_mul_i32 s6, s9, 48
	s_delay_alu instid0(VALU_DEP_3) | instskip(SKIP_1) | instid1(VALU_DEP_2)
	v_dual_mov_b32 v5, v8 :: v_dual_mov_b32 v8, v16
	v_lshlrev_b64_e32 v[2:3], 3, v[2:3]
	v_lshlrev_b64_e32 v[4:5], 3, v[4:5]
	s_delay_alu instid0(VALU_DEP_3) | instskip(NEXT) | instid1(VALU_DEP_3)
	v_lshlrev_b64_e32 v[6:7], 3, v[7:8]
	v_add_co_u32 v0, s2, v20, v2
	s_wait_alu 0xf1ff
	s_delay_alu instid0(VALU_DEP_4) | instskip(SKIP_1) | instid1(VALU_DEP_2)
	v_add_co_ci_u32_e64 v1, s2, v21, v3, s2
	s_wait_alu 0xfffe
	v_add_co_u32 v2, s2, v0, s10
	s_wait_alu 0xf1ff
	s_delay_alu instid0(VALU_DEP_2) | instskip(NEXT) | instid1(VALU_DEP_2)
	v_add_co_ci_u32_e64 v3, s2, s11, v1, s2
	v_add_co_u32 v16, s2, v2, s10
	s_wait_alu 0xf1ff
	s_delay_alu instid0(VALU_DEP_2) | instskip(NEXT) | instid1(VALU_DEP_2)
	v_add_co_ci_u32_e64 v17, s2, s11, v3, s2
	v_add_co_u32 v8, s2, v16, s10
	s_wait_alu 0xf1ff
	s_delay_alu instid0(VALU_DEP_2)
	v_add_co_ci_u32_e64 v9, s2, s11, v17, s2
	v_add_co_u32 v4, s2, v20, v4
	s_wait_alu 0xf1ff
	v_add_co_ci_u32_e64 v5, s2, v21, v5, s2
	v_add_co_u32 v6, s2, v20, v6
	s_wait_alu 0xf1ff
	v_add_co_ci_u32_e64 v7, s2, v21, v7, s2
	global_load_b64 v[0:1], v[0:1], off
	global_load_b64 v[20:21], v43, s[12:13] offset:192
	s_clause 0x3
	global_load_b64 v[4:5], v[4:5], off
	global_load_b64 v[16:17], v[16:17], off
	;; [unrolled: 1-line block ×4, first 2 shown]
	v_mad_co_u64_u32 v[18:19], null, s8, 48, v[8:9]
	s_clause 0x1
	global_load_b64 v[26:27], v43, s[12:13] offset:48
	global_load_b64 v[28:29], v43, s[12:13] offset:72
	global_load_b64 v[8:9], v[8:9], off
	v_add_nc_u32_e32 v58, v44, v43
	v_add_co_u32 v22, s2, v18, s10
	s_wait_loadcnt 0x8
	v_mul_f32_e32 v51, v1, v11
	v_mul_f32_e32 v11, v0, v11
	s_wait_loadcnt 0x6
	v_mul_f32_e32 v53, v5, v15
	s_wait_loadcnt 0x4
	v_dual_fmac_f32 v51, v0, v10 :: v_dual_mul_f32 v0, v3, v13
	v_add_nc_u32_e32 v19, s6, v19
	s_wait_loadcnt 0x3
	v_mul_f32_e32 v55, v7, v21
	v_mul_f32_e32 v21, v6, v21
	v_dual_fmac_f32 v53, v4, v14 :: v_dual_fmac_f32 v0, v2, v12
	s_wait_alu 0xf1ff
	v_add_co_ci_u32_e64 v23, s2, s11, v19, s2
	v_add_co_u32 v24, s2, v22, s10
	s_wait_alu 0xf1ff
	s_delay_alu instid0(VALU_DEP_2)
	v_add_co_ci_u32_e64 v25, s2, s11, v23, s2
	global_load_b64 v[18:19], v[18:19], off
	s_clause 0x2
	global_load_b64 v[32:33], v43, s[12:13] offset:120
	global_load_b64 v[34:35], v43, s[12:13] offset:144
	;; [unrolled: 1-line block ×3, first 2 shown]
	global_load_b64 v[22:23], v[22:23], off
	v_mad_co_u64_u32 v[30:31], null, s8, 48, v[24:25]
	global_load_b64 v[24:25], v[24:25], off
	v_fmac_f32_e32 v55, v6, v20
	v_add_nc_u32_e32 v31, s6, v31
	v_add_co_u32 v45, s2, v30, s10
	s_wait_loadcnt 0x4
	v_dual_mul_f32 v6, v19, v33 :: v_dual_mul_f32 v15, v4, v15
	v_mul_f32_e32 v4, v9, v29
	s_wait_alu 0xf1ff
	v_add_co_ci_u32_e64 v46, s2, s11, v31, s2
	s_delay_alu instid0(VALU_DEP_3)
	v_fmac_f32_e32 v6, v18, v32
	global_load_b64 v[30:31], v[30:31], off
	s_clause 0x1
	global_load_b64 v[47:48], v43, s[12:13] offset:216
	global_load_b64 v[49:50], v43, s[12:13] offset:240
	global_load_b64 v[45:46], v[45:46], off
	v_fma_f32 v52, v1, v10, -v11
	s_wait_loadcnt 0x4
	v_dual_mul_f32 v1, v2, v13 :: v_dual_mul_f32 v10, v25, v38
	v_fma_f32 v54, v5, v14, -v15
	v_mul_f32_e32 v2, v17, v27
	v_fma_f32 v56, v7, v20, -v21
	v_mul_f32_e32 v7, v8, v29
	v_fmac_f32_e32 v4, v8, v28
	v_mul_f32_e32 v8, v23, v35
	v_mul_f32_e32 v5, v16, v27
	v_fma_f32 v1, v3, v12, -v1
	v_fmac_f32_e32 v2, v16, v26
	v_fmac_f32_e32 v10, v24, v37
	;; [unrolled: 1-line block ×3, first 2 shown]
	v_fma_f32 v3, v17, v26, -v5
	ds_store_b64 v57, v[51:52]
	s_wait_loadcnt 0x2
	v_dual_mul_f32 v12, v31, v48 :: v_dual_mul_f32 v11, v24, v38
	s_wait_loadcnt 0x0
	v_mul_f32_e32 v14, v46, v50
	v_fma_f32 v5, v9, v28, -v7
	v_mul_f32_e32 v7, v18, v33
	v_fmac_f32_e32 v12, v30, v47
	s_delay_alu instid0(VALU_DEP_4) | instskip(SKIP_3) | instid1(VALU_DEP_4)
	v_dual_mul_f32 v9, v22, v35 :: v_dual_fmac_f32 v14, v45, v49
	v_mul_f32_e32 v13, v30, v48
	v_mul_f32_e32 v15, v45, v50
	v_fma_f32 v7, v19, v32, -v7
	v_fma_f32 v9, v23, v34, -v9
	;; [unrolled: 1-line block ×5, first 2 shown]
	ds_store_2addr_b64 v58, v[0:1], v[2:3] offset0:3 offset1:6
	ds_store_2addr_b64 v58, v[4:5], v[53:54] offset0:9 offset1:12
	;; [unrolled: 1-line block ×5, first 2 shown]
.LBB0_3:
	s_or_b32 exec_lo, exec_lo, s3
	s_clause 0x1
	s_load_b64 s[2:3], s[0:1], 0x20
	s_load_b64 s[6:7], s[0:1], 0x8
	v_mov_b32_e32 v0, 0
	v_mov_b32_e32 v1, 0
	global_wb scope:SCOPE_SE
	s_wait_dscnt 0x0
	s_wait_kmcnt 0x0
	s_barrier_signal -1
	s_barrier_wait -1
	global_inv scope:SCOPE_SE
                                        ; implicit-def: $vgpr13
                                        ; implicit-def: $vgpr17
                                        ; implicit-def: $vgpr27
                                        ; implicit-def: $vgpr31
                                        ; implicit-def: $vgpr34
	s_and_saveexec_b32 s0, vcc_lo
	s_cbranch_execz .LBB0_5
; %bb.4:
	v_lshl_add_u32 v4, v42, 3, v43
	ds_load_2addr_b64 v[0:3], v4 offset1:3
	ds_load_2addr_b64 v[32:35], v4 offset0:6 offset1:9
	ds_load_2addr_b64 v[12:15], v4 offset0:12 offset1:15
	;; [unrolled: 1-line block ×4, first 2 shown]
	ds_load_b64 v[16:17], v4 offset:240
.LBB0_5:
	s_wait_alu 0xfffe
	s_or_b32 exec_lo, exec_lo, s0
	s_wait_dscnt 0x0
	v_dual_sub_f32 v4, v3, v17 :: v_dual_sub_f32 v5, v2, v16
	v_dual_add_f32 v52, v16, v2 :: v_dual_add_f32 v53, v17, v3
	global_wb scope:SCOPE_SE
	v_dual_mul_f32 v46, 0xbf0a6770, v4 :: v_dual_mul_f32 v47, 0xbf0a6770, v5
	v_dual_mul_f32 v6, 0xbf7d64f0, v4 :: v_dual_mul_f32 v9, 0xbf7d64f0, v5
	;; [unrolled: 1-line block ×3, first 2 shown]
	s_delay_alu instid0(VALU_DEP_3) | instskip(NEXT) | instid1(VALU_DEP_3)
	v_fma_f32 v8, 0x3f575c64, v53, -v47
	v_fma_f32 v18, 0xbe11bafb, v52, -v6
	s_barrier_signal -1
	s_delay_alu instid0(VALU_DEP_3) | instskip(NEXT) | instid1(VALU_DEP_3)
	v_fmamk_f32 v10, v52, 0x3ed4b147, v48
	v_dual_mul_f32 v19, 0xbf4178ce, v4 :: v_dual_add_f32 v8, v8, v1
	v_dual_mul_f32 v4, 0xbe903f40, v4 :: v_dual_sub_f32 v45, v33, v27
	v_fma_f32 v11, 0x3ed4b147, v53, -v51
	s_delay_alu instid0(VALU_DEP_3) | instskip(SKIP_4) | instid1(VALU_DEP_4)
	v_fma_f32 v21, 0xbf27a4f4, v52, -v19
	v_fmac_f32_e32 v19, 0xbf27a4f4, v52
	v_mul_f32_e32 v22, 0xbf4178ce, v5
	v_fma_f32 v37, 0xbf75a155, v52, -v4
	v_dual_fmac_f32 v4, 0xbf75a155, v52 :: v_dual_add_f32 v59, v27, v33
	v_add_f32_e32 v19, v19, v0
	s_delay_alu instid0(VALU_DEP_4) | instskip(SKIP_3) | instid1(VALU_DEP_3)
	v_fmamk_f32 v23, v53, 0xbf27a4f4, v22
	v_fma_f32 v22, 0xbf27a4f4, v53, -v22
	v_dual_add_f32 v11, v11, v1 :: v_dual_fmamk_f32 v20, v53, 0xbe11bafb, v9
	v_dual_add_f32 v58, v26, v32 :: v_dual_mul_f32 v49, 0xbf68dda4, v45
	v_add_f32_e32 v22, v22, v1
	v_dual_fmac_f32 v6, 0xbe11bafb, v52 :: v_dual_add_f32 v23, v23, v1
	v_mul_f32_e32 v5, 0xbe903f40, v5
	v_dual_fmamk_f32 v7, v52, 0x3f575c64, v46 :: v_dual_add_f32 v10, v10, v0
	s_delay_alu instid0(VALU_DEP_3) | instskip(NEXT) | instid1(VALU_DEP_3)
	v_dual_add_f32 v6, v6, v0 :: v_dual_sub_f32 v55, v32, v26
	v_fmamk_f32 v38, v53, 0xbf75a155, v5
	v_dual_add_f32 v37, v37, v0 :: v_dual_mul_f32 v54, 0xbf4178ce, v45
	v_fma_f32 v9, 0xbe11bafb, v53, -v9
	s_delay_alu instid0(VALU_DEP_4) | instskip(SKIP_3) | instid1(VALU_DEP_4)
	v_mul_f32_e32 v57, 0xbf4178ce, v55
	v_mul_f32_e32 v50, 0xbf68dda4, v55
	v_dual_add_f32 v20, v20, v1 :: v_dual_add_f32 v21, v21, v0
	v_add_f32_e32 v7, v7, v0
	v_fma_f32 v62, 0xbf27a4f4, v59, -v57
	s_delay_alu instid0(VALU_DEP_4) | instskip(SKIP_2) | instid1(VALU_DEP_3)
	v_fma_f32 v60, 0x3ed4b147, v59, -v50
	v_fmamk_f32 v61, v58, 0xbf27a4f4, v54
	v_dual_add_f32 v18, v18, v0 :: v_dual_add_f32 v9, v9, v1
	v_dual_add_f32 v11, v62, v11 :: v_dual_add_f32 v8, v60, v8
	v_mul_f32_e32 v60, 0x3e903f40, v55
	s_delay_alu instid0(VALU_DEP_4)
	v_add_f32_e32 v10, v61, v10
	v_fma_f32 v5, 0xbf75a155, v53, -v5
	v_add_f32_e32 v4, v4, v0
	v_add_f32_e32 v38, v38, v1
	v_fmamk_f32 v62, v59, 0xbf75a155, v60
	v_fma_f32 v60, 0xbf75a155, v59, -v60
	v_dual_fmamk_f32 v56, v58, 0x3ed4b147, v49 :: v_dual_add_f32 v5, v5, v1
	s_barrier_wait -1
	s_delay_alu instid0(VALU_DEP_2) | instskip(NEXT) | instid1(VALU_DEP_2)
	v_dual_add_f32 v20, v62, v20 :: v_dual_add_f32 v9, v60, v9
	v_dual_add_f32 v7, v56, v7 :: v_dual_mul_f32 v56, 0x3e903f40, v45
	v_mul_f32_e32 v62, 0x3f7d64f0, v55
	global_inv scope:SCOPE_SE
	v_add_f32_e32 v65, v25, v35
	v_sub_f32_e32 v71, v13, v31
	v_fma_f32 v63, 0xbf75a155, v58, -v56
	v_mul_f32_e32 v61, 0x3f7d64f0, v45
	v_dual_mul_f32 v45, 0x3f0a6770, v45 :: v_dual_add_f32 v78, v14, v28
	v_sub_f32_e32 v80, v14, v28
	s_delay_alu instid0(VALU_DEP_4) | instskip(NEXT) | instid1(VALU_DEP_4)
	v_add_f32_e32 v18, v63, v18
	v_fma_f32 v63, 0xbe11bafb, v58, -v61
	v_fmac_f32_e32 v61, 0xbe11bafb, v58
	s_delay_alu instid0(VALU_DEP_2) | instskip(NEXT) | instid1(VALU_DEP_1)
	v_dual_fmac_f32 v56, 0xbf75a155, v58 :: v_dual_add_f32 v21, v63, v21
	v_dual_add_f32 v19, v61, v19 :: v_dual_add_f32 v6, v56, v6
	v_fmamk_f32 v56, v59, 0xbe11bafb, v62
	v_mul_f32_e32 v60, 0x3f0a6770, v55
	v_add_f32_e32 v64, v24, v34
	s_delay_alu instid0(VALU_DEP_2) | instskip(SKIP_1) | instid1(VALU_DEP_1)
	v_dual_add_f32 v23, v56, v23 :: v_dual_fmamk_f32 v56, v59, 0x3f575c64, v60
	v_fma_f32 v60, 0x3f575c64, v59, -v60
	v_add_f32_e32 v5, v60, v5
	v_fma_f32 v55, 0xbe11bafb, v59, -v62
	v_fma_f32 v62, 0x3f575c64, v58, -v45
	v_fmac_f32_e32 v45, 0x3f575c64, v58
	s_delay_alu instid0(VALU_DEP_2) | instskip(SKIP_2) | instid1(VALU_DEP_2)
	v_dual_add_f32 v22, v55, v22 :: v_dual_add_f32 v37, v62, v37
	v_sub_f32_e32 v62, v35, v25
	v_sub_f32_e32 v66, v34, v24
	v_dual_add_f32 v4, v45, v4 :: v_dual_mul_f32 v61, 0x3e903f40, v62
	v_mul_f32_e32 v55, 0xbf7d64f0, v62
	s_delay_alu instid0(VALU_DEP_3) | instskip(NEXT) | instid1(VALU_DEP_2)
	v_mul_f32_e32 v63, 0x3e903f40, v66
	v_fmamk_f32 v45, v64, 0xbe11bafb, v55
	v_add_f32_e32 v38, v56, v38
	s_delay_alu instid0(VALU_DEP_3) | instskip(NEXT) | instid1(VALU_DEP_3)
	v_fma_f32 v68, 0xbf75a155, v65, -v63
	v_dual_mul_f32 v56, 0xbf7d64f0, v66 :: v_dual_add_f32 v7, v45, v7
	s_delay_alu instid0(VALU_DEP_2) | instskip(NEXT) | instid1(VALU_DEP_2)
	v_add_f32_e32 v11, v68, v11
	v_fma_f32 v60, 0xbe11bafb, v65, -v56
	s_delay_alu instid0(VALU_DEP_1) | instskip(SKIP_1) | instid1(VALU_DEP_1)
	v_add_f32_e32 v8, v60, v8
	v_mul_f32_e32 v60, 0x3f68dda4, v66
	v_fmamk_f32 v68, v65, 0x3ed4b147, v60
	v_fma_f32 v60, 0x3ed4b147, v65, -v60
	s_delay_alu instid0(VALU_DEP_1) | instskip(NEXT) | instid1(VALU_DEP_3)
	v_add_f32_e32 v9, v60, v9
	v_dual_mul_f32 v45, 0x3f68dda4, v62 :: v_dual_add_f32 v20, v68, v20
	v_mul_f32_e32 v68, 0xbf0a6770, v66
	s_delay_alu instid0(VALU_DEP_2) | instskip(NEXT) | instid1(VALU_DEP_1)
	v_fma_f32 v69, 0x3ed4b147, v64, -v45
	v_dual_fmamk_f32 v67, v64, 0xbf75a155, v61 :: v_dual_add_f32 v18, v69, v18
	s_delay_alu instid0(VALU_DEP_1) | instskip(SKIP_2) | instid1(VALU_DEP_2)
	v_add_f32_e32 v10, v67, v10
	v_mul_f32_e32 v67, 0xbf0a6770, v62
	v_fmamk_f32 v60, v65, 0x3f575c64, v68
	v_fma_f32 v69, 0x3f575c64, v64, -v67
	v_fmac_f32_e32 v67, 0x3f575c64, v64
	s_delay_alu instid0(VALU_DEP_3) | instskip(NEXT) | instid1(VALU_DEP_3)
	v_add_f32_e32 v23, v60, v23
	v_add_f32_e32 v21, v69, v21
	s_delay_alu instid0(VALU_DEP_3) | instskip(SKIP_3) | instid1(VALU_DEP_3)
	v_add_f32_e32 v19, v67, v19
	v_fmac_f32_e32 v45, 0x3ed4b147, v64
	v_add_f32_e32 v67, v12, v30
	v_sub_f32_e32 v69, v12, v30
	v_add_f32_e32 v6, v45, v6
	v_mul_f32_e32 v45, 0xbf4178ce, v62
	v_mul_f32_e32 v62, 0xbf4178ce, v66
	v_fma_f32 v66, 0x3f575c64, v65, -v68
	s_delay_alu instid0(VALU_DEP_3) | instskip(NEXT) | instid1(VALU_DEP_1)
	v_fma_f32 v68, 0xbf27a4f4, v64, -v45
	v_dual_fmamk_f32 v60, v65, 0xbf27a4f4, v62 :: v_dual_add_f32 v37, v68, v37
	s_delay_alu instid0(VALU_DEP_1) | instskip(SKIP_4) | instid1(VALU_DEP_3)
	v_add_f32_e32 v38, v60, v38
	v_mul_f32_e32 v60, 0xbf27a4f4, v67
	v_dual_add_f32 v68, v13, v31 :: v_dual_fmac_f32 v45, 0xbf27a4f4, v64
	v_add_f32_e32 v22, v66, v22
	v_fma_f32 v66, 0xbf27a4f4, v65, -v62
	v_dual_add_f32 v4, v45, v4 :: v_dual_fmamk_f32 v45, v71, 0xbf4178ce, v60
	v_mul_f32_e32 v62, 0xbf4178ce, v69
	s_delay_alu instid0(VALU_DEP_3) | instskip(NEXT) | instid1(VALU_DEP_3)
	v_add_f32_e32 v5, v66, v5
	v_add_f32_e32 v7, v45, v7
	s_delay_alu instid0(VALU_DEP_3) | instskip(NEXT) | instid1(VALU_DEP_1)
	v_fma_f32 v72, 0xbf27a4f4, v68, -v62
	v_dual_mul_f32 v45, 0x3f575c64, v67 :: v_dual_add_f32 v8, v72, v8
	s_delay_alu instid0(VALU_DEP_1) | instskip(SKIP_1) | instid1(VALU_DEP_1)
	v_fmamk_f32 v75, v71, 0x3f0a6770, v45
	v_fmac_f32_e32 v45, 0xbf0a6770, v71
	v_dual_mul_f32 v66, 0xbe11bafb, v67 :: v_dual_add_f32 v45, v45, v6
	s_delay_alu instid0(VALU_DEP_1) | instskip(SKIP_1) | instid1(VALU_DEP_2)
	v_dual_mul_f32 v70, 0x3f7d64f0, v69 :: v_dual_fmamk_f32 v73, v71, 0x3f7d64f0, v66
	v_mul_f32_e32 v6, 0x3ed4b147, v67
	v_fma_f32 v74, 0xbe11bafb, v68, -v70
	s_delay_alu instid0(VALU_DEP_3) | instskip(SKIP_1) | instid1(VALU_DEP_3)
	v_dual_add_f32 v10, v73, v10 :: v_dual_mul_f32 v73, 0xbf75a155, v67
	v_add_f32_e32 v18, v75, v18
	v_dual_mul_f32 v72, 0xbf0a6770, v69 :: v_dual_add_f32 v11, v74, v11
	v_mul_f32_e32 v83, 0xbf4178ce, v80
	s_delay_alu instid0(VALU_DEP_4) | instskip(SKIP_1) | instid1(VALU_DEP_1)
	v_fmamk_f32 v75, v71, 0x3e903f40, v73
	v_fmac_f32_e32 v73, 0xbe903f40, v71
	v_add_f32_e32 v76, v73, v19
	s_delay_alu instid0(VALU_DEP_3) | instskip(SKIP_1) | instid1(VALU_DEP_2)
	v_dual_fmamk_f32 v74, v68, 0x3f575c64, v72 :: v_dual_add_f32 v21, v75, v21
	v_fma_f32 v72, 0x3f575c64, v68, -v72
	v_add_f32_e32 v20, v74, v20
	v_mul_f32_e32 v74, 0xbe903f40, v69
	s_delay_alu instid0(VALU_DEP_3) | instskip(NEXT) | instid1(VALU_DEP_2)
	v_add_f32_e32 v9, v72, v9
	v_fmamk_f32 v67, v68, 0xbf75a155, v74
	s_delay_alu instid0(VALU_DEP_1) | instskip(SKIP_4) | instid1(VALU_DEP_4)
	v_add_f32_e32 v23, v67, v23
	v_fma_f32 v72, 0xbf75a155, v68, -v74
	v_mul_f32_e32 v69, 0x3f68dda4, v69
	v_fmamk_f32 v74, v71, 0xbf68dda4, v6
	v_fmac_f32_e32 v6, 0x3f68dda4, v71
	v_add_f32_e32 v22, v72, v22
	s_delay_alu instid0(VALU_DEP_4) | instskip(SKIP_1) | instid1(VALU_DEP_4)
	v_fmamk_f32 v67, v68, 0x3ed4b147, v69
	v_fma_f32 v19, 0x3ed4b147, v68, -v69
	v_dual_sub_f32 v72, v15, v29 :: v_dual_add_f32 v81, v6, v4
	v_mul_f32_e32 v69, 0xbe903f40, v80
	s_delay_alu instid0(VALU_DEP_4) | instskip(NEXT) | instid1(VALU_DEP_4)
	v_add_f32_e32 v79, v67, v38
	v_dual_mul_f32 v67, 0xbf75a155, v78 :: v_dual_add_f32 v82, v19, v5
	v_add_f32_e32 v77, v74, v37
	v_dual_add_f32 v74, v15, v29 :: v_dual_mul_f32 v5, 0xbf27a4f4, v78
	s_delay_alu instid0(VALU_DEP_3) | instskip(NEXT) | instid1(VALU_DEP_1)
	v_fmamk_f32 v4, v72, 0xbe903f40, v67
	v_add_f32_e32 v37, v4, v7
	s_delay_alu instid0(VALU_DEP_3) | instskip(NEXT) | instid1(VALU_DEP_1)
	v_fma_f32 v4, 0xbf75a155, v74, -v69
	v_dual_mul_f32 v73, 0x3f575c64, v78 :: v_dual_add_f32 v38, v4, v8
	s_delay_alu instid0(VALU_DEP_1) | instskip(SKIP_3) | instid1(VALU_DEP_4)
	v_dual_mul_f32 v75, 0x3f0a6770, v80 :: v_dual_fmamk_f32 v6, v72, 0x3f0a6770, v73
	v_fmamk_f32 v4, v74, 0xbf27a4f4, v83
	v_fmamk_f32 v19, v72, 0x3f4178ce, v5
	v_mul_f32_e32 v8, 0x3ed4b147, v78
	v_fma_f32 v7, 0x3f575c64, v74, -v75
	v_add_f32_e32 v6, v6, v10
	s_delay_alu instid0(VALU_DEP_4) | instskip(SKIP_1) | instid1(VALU_DEP_4)
	v_add_f32_e32 v18, v19, v18
	v_fma_f32 v10, 0xbf27a4f4, v74, -v83
	v_add_f32_e32 v7, v7, v11
	v_mul_f32_e32 v11, 0x3f68dda4, v80
	v_add_f32_e32 v19, v4, v20
	v_fmamk_f32 v20, v72, 0xbf68dda4, v8
	v_fmac_f32_e32 v5, 0xbf4178ce, v72
	v_fmac_f32_e32 v8, 0x3f68dda4, v72
	s_delay_alu instid0(VALU_DEP_3) | instskip(NEXT) | instid1(VALU_DEP_3)
	v_add_f32_e32 v20, v20, v21
	v_add_f32_e32 v4, v5, v45
	;; [unrolled: 1-line block ×3, first 2 shown]
	s_delay_alu instid0(VALU_DEP_4) | instskip(SKIP_2) | instid1(VALU_DEP_3)
	v_dual_fmamk_f32 v9, v74, 0x3ed4b147, v11 :: v_dual_add_f32 v10, v8, v76
	v_mul_f32_e32 v45, 0xbe11bafb, v78
	v_fma_f32 v8, 0x3ed4b147, v74, -v11
	v_dual_mul_f32 v78, 0xbf7d64f0, v80 :: v_dual_add_f32 v21, v9, v23
	s_delay_alu instid0(VALU_DEP_3) | instskip(NEXT) | instid1(VALU_DEP_3)
	v_fmamk_f32 v9, v72, 0x3f7d64f0, v45
	v_add_f32_e32 v11, v8, v22
	s_delay_alu instid0(VALU_DEP_3) | instskip(SKIP_2) | instid1(VALU_DEP_3)
	v_fmamk_f32 v23, v74, 0xbe11bafb, v78
	v_fmac_f32_e32 v45, 0xbf7d64f0, v72
	v_fma_f32 v76, 0xbe11bafb, v74, -v78
	v_dual_add_f32 v22, v9, v77 :: v_dual_add_f32 v23, v23, v79
	s_delay_alu instid0(VALU_DEP_2)
	v_dual_add_f32 v8, v45, v81 :: v_dual_add_f32 v9, v76, v82
	v_mul_lo_u16 v45, v41, 11
	s_and_saveexec_b32 s0, vcc_lo
	s_cbranch_execz .LBB0_7
; %bb.6:
	v_dual_mul_f32 v76, 0x3f575c64, v52 :: v_dual_mul_f32 v77, 0x3f575c64, v53
	v_dual_mul_f32 v52, 0x3ed4b147, v52 :: v_dual_mul_f32 v53, 0x3ed4b147, v53
	;; [unrolled: 1-line block ×4, first 2 shown]
	s_delay_alu instid0(VALU_DEP_3) | instskip(SKIP_2) | instid1(VALU_DEP_3)
	v_add_f32_e32 v51, v51, v53
	v_dual_mul_f32 v53, 0xbe11bafb, v64 :: v_dual_mul_f32 v80, 0xbe11bafb, v65
	v_dual_mul_f32 v64, 0xbf75a155, v64 :: v_dual_mul_f32 v65, 0xbf75a155, v65
	v_dual_sub_f32 v48, v52, v48 :: v_dual_add_f32 v51, v51, v1
	v_add_f32_e32 v57, v57, v59
	v_dual_mul_f32 v59, 0xbf4178ce, v71 :: v_dual_sub_f32 v54, v58, v54
	s_delay_alu instid0(VALU_DEP_4) | instskip(NEXT) | instid1(VALU_DEP_3)
	v_add_f32_e32 v52, v63, v65
	v_dual_add_f32 v48, v48, v0 :: v_dual_add_f32 v51, v57, v51
	v_mul_f32_e32 v58, 0xbf75a155, v74
	v_mul_f32_e32 v71, 0x3f7d64f0, v71
	v_mul_f32_e32 v57, 0xbe11bafb, v68
	s_delay_alu instid0(VALU_DEP_4) | instskip(SKIP_4) | instid1(VALU_DEP_4)
	v_add_f32_e32 v48, v54, v48
	v_sub_f32_e32 v54, v64, v61
	v_dual_add_f32 v51, v52, v51 :: v_dual_add_f32 v2, v2, v0
	v_add_f32_e32 v3, v3, v1
	v_dual_mul_f32 v81, 0xbf27a4f4, v68 :: v_dual_add_f32 v52, v57, v70
	v_dual_mul_f32 v57, 0x3f575c64, v74 :: v_dual_add_f32 v48, v54, v48
	v_sub_f32_e32 v54, v66, v71
	s_delay_alu instid0(VALU_DEP_4) | instskip(NEXT) | instid1(VALU_DEP_4)
	v_dual_add_f32 v3, v33, v3 :: v_dual_add_f32 v32, v32, v2
	v_add_f32_e32 v51, v52, v51
	s_delay_alu instid0(VALU_DEP_4) | instskip(NEXT) | instid1(VALU_DEP_3)
	v_dual_mul_f32 v63, 0xbe903f40, v72 :: v_dual_add_f32 v52, v57, v75
	v_dual_add_f32 v3, v35, v3 :: v_dual_add_f32 v32, v34, v32
	v_add_f32_e32 v47, v47, v77
	s_delay_alu instid0(VALU_DEP_3) | instskip(SKIP_1) | instid1(VALU_DEP_4)
	v_dual_mul_f32 v57, 0x3f0a6770, v72 :: v_dual_add_f32 v2, v52, v51
	v_add_f32_e32 v33, v54, v48
	v_add_f32_e32 v12, v12, v32
	v_dual_sub_f32 v35, v76, v46 :: v_dual_sub_f32 v32, v78, v49
	s_delay_alu instid0(VALU_DEP_4) | instskip(NEXT) | instid1(VALU_DEP_3)
	v_sub_f32_e32 v34, v73, v57
	v_dual_add_f32 v12, v14, v12 :: v_dual_add_f32 v3, v13, v3
	s_delay_alu instid0(VALU_DEP_3) | instskip(NEXT) | instid1(VALU_DEP_2)
	v_dual_add_f32 v0, v35, v0 :: v_dual_add_f32 v13, v50, v79
	v_dual_add_f32 v1, v47, v1 :: v_dual_add_f32 v12, v28, v12
	s_delay_alu instid0(VALU_DEP_2) | instskip(SKIP_1) | instid1(VALU_DEP_3)
	v_dual_add_f32 v3, v15, v3 :: v_dual_add_f32 v0, v32, v0
	v_sub_f32_e32 v14, v53, v55
	v_dual_add_f32 v1, v13, v1 :: v_dual_add_f32 v12, v30, v12
	s_delay_alu instid0(VALU_DEP_3) | instskip(SKIP_1) | instid1(VALU_DEP_4)
	v_add_f32_e32 v3, v29, v3
	v_add_f32_e32 v13, v56, v80
	;; [unrolled: 1-line block ×3, first 2 shown]
	v_sub_f32_e32 v14, v60, v59
	s_delay_alu instid0(VALU_DEP_4) | instskip(NEXT) | instid1(VALU_DEP_2)
	v_dual_add_f32 v12, v24, v12 :: v_dual_add_f32 v3, v31, v3
	v_add_f32_e32 v0, v14, v0
	v_dual_sub_f32 v14, v67, v63 :: v_dual_add_f32 v1, v13, v1
	s_delay_alu instid0(VALU_DEP_3) | instskip(NEXT) | instid1(VALU_DEP_4)
	v_dual_add_f32 v24, v26, v12 :: v_dual_add_f32 v13, v81, v62
	v_add_f32_e32 v3, v25, v3
	s_delay_alu instid0(VALU_DEP_3) | instskip(NEXT) | instid1(VALU_DEP_3)
	v_dual_add_f32 v12, v14, v0 :: v_dual_and_b32 v25, 0xffff, v45
	v_dual_add_f32 v14, v16, v24 :: v_dual_add_f32 v1, v13, v1
	v_add_f32_e32 v13, v58, v69
	s_delay_alu instid0(VALU_DEP_4) | instskip(NEXT) | instid1(VALU_DEP_4)
	v_add_f32_e32 v3, v27, v3
	v_add_lshl_u32 v0, v42, v25, 3
	s_delay_alu instid0(VALU_DEP_3) | instskip(NEXT) | instid1(VALU_DEP_3)
	v_add_f32_e32 v13, v13, v1
	v_add_f32_e32 v15, v17, v3
	;; [unrolled: 1-line block ×3, first 2 shown]
	ds_store_2addr_b64 v0, v[14:15], v[12:13] offset1:1
	ds_store_2addr_b64 v0, v[1:2], v[18:19] offset0:2 offset1:3
	ds_store_2addr_b64 v0, v[20:21], v[22:23] offset0:4 offset1:5
	;; [unrolled: 1-line block ×4, first 2 shown]
	ds_store_b64 v0, v[37:38] offset:80
.LBB0_7:
	s_wait_alu 0xfffe
	s_or_b32 exec_lo, exec_lo, s0
	v_lshlrev_b32_e32 v0, 4, v41
	s_load_b128 s[0:3], s[2:3], 0x0
	global_wb scope:SCOPE_SE
	s_wait_dscnt 0x0
	s_wait_kmcnt 0x0
	s_barrier_signal -1
	s_barrier_wait -1
	global_inv scope:SCOPE_SE
	global_load_b128 v[0:3], v0, s[6:7]
	v_add_lshl_u32 v27, v42, v41, 3
	ds_load_2addr_b64 v[12:15], v27 offset1:11
	ds_load_b64 v[16:17], v27 offset:176
	v_lshl_add_u32 v26, v41, 3, v44
	s_wait_loadcnt_dscnt 0x0
	v_dual_mul_f32 v25, v17, v3 :: v_dual_mul_f32 v24, v15, v1
	v_dual_mul_f32 v29, v16, v3 :: v_dual_mul_f32 v28, v14, v1
	s_delay_alu instid0(VALU_DEP_2) | instskip(NEXT) | instid1(VALU_DEP_2)
	v_fma_f32 v14, v14, v0, -v24
	v_fmac_f32_e32 v29, v17, v2
	s_delay_alu instid0(VALU_DEP_4) | instskip(NEXT) | instid1(VALU_DEP_3)
	v_fma_f32 v24, v16, v2, -v25
	v_dual_fmac_f32 v28, v15, v0 :: v_dual_add_f32 v25, v12, v14
	s_delay_alu instid0(VALU_DEP_1) | instskip(SKIP_1) | instid1(VALU_DEP_2)
	v_dual_add_f32 v15, v14, v24 :: v_dual_sub_f32 v30, v28, v29
	v_dual_add_f32 v17, v28, v29 :: v_dual_add_f32 v28, v13, v28
	v_fma_f32 v16, -0.5, v15, v12
	v_sub_f32_e32 v31, v14, v24
	s_delay_alu instid0(VALU_DEP_3) | instskip(NEXT) | instid1(VALU_DEP_4)
	v_fma_f32 v17, -0.5, v17, v13
	v_dual_add_f32 v12, v25, v24 :: v_dual_add_f32 v13, v28, v29
	s_delay_alu instid0(VALU_DEP_4) | instskip(NEXT) | instid1(VALU_DEP_3)
	v_fmamk_f32 v14, v30, 0x3f5db3d7, v16
	v_dual_fmac_f32 v16, 0xbf5db3d7, v30 :: v_dual_fmamk_f32 v15, v31, 0xbf5db3d7, v17
	v_fmac_f32_e32 v17, 0x3f5db3d7, v31
	ds_store_2addr_b64 v26, v[12:13], v[14:15] offset1:11
	ds_store_b64 v26, v[16:17] offset:176
	global_wb scope:SCOPE_SE
	s_wait_dscnt 0x0
	s_barrier_signal -1
	s_barrier_wait -1
	global_inv scope:SCOPE_SE
	s_and_saveexec_b32 s6, vcc_lo
	s_cbranch_execz .LBB0_9
; %bb.8:
	s_add_nc_u64 s[8:9], s[12:13], 0x108
	s_clause 0xa
	global_load_b64 v[24:25], v43, s[12:13] offset:264
	global_load_b64 v[58:59], v43, s[8:9] offset:24
	;; [unrolled: 1-line block ×11, first 2 shown]
	ds_load_2addr_b64 v[28:31], v26 offset1:3
	ds_load_2addr_b64 v[32:35], v26 offset0:6 offset1:9
	ds_load_2addr_b64 v[46:49], v26 offset0:12 offset1:15
	;; [unrolled: 1-line block ×4, first 2 shown]
	ds_load_b64 v[78:79], v26 offset:240
	s_wait_loadcnt_dscnt 0xa05
	v_mul_f32_e32 v80, v29, v25
	s_wait_loadcnt 0x9
	v_dual_mul_f32 v81, v28, v25 :: v_dual_mul_f32 v82, v31, v59
	v_mul_f32_e32 v25, v30, v59
	s_wait_loadcnt_dscnt 0x704
	v_dual_mul_f32 v83, v33, v61 :: v_dual_mul_f32 v84, v35, v63
	s_wait_loadcnt_dscnt 0x503
	v_dual_mul_f32 v59, v32, v61 :: v_dual_mul_f32 v86, v49, v67
	v_mul_f32_e32 v61, v34, v63
	s_wait_loadcnt_dscnt 0x302
	v_dual_mul_f32 v85, v47, v65 :: v_dual_mul_f32 v88, v53, v71
	s_wait_loadcnt_dscnt 0x101
	v_dual_mul_f32 v63, v46, v65 :: v_dual_mul_f32 v90, v57, v75
	v_mul_f32_e32 v65, v48, v67
	v_mul_f32_e32 v87, v51, v69
	;; [unrolled: 1-line block ×7, first 2 shown]
	s_wait_loadcnt_dscnt 0x0
	v_mul_f32_e32 v91, v79, v77
	v_mul_f32_e32 v75, v78, v77
	v_fma_f32 v80, v28, v24, -v80
	v_fmac_f32_e32 v81, v29, v24
	v_fma_f32 v24, v30, v58, -v82
	v_fmac_f32_e32 v25, v31, v58
	;; [unrolled: 2-line block ×11, first 2 shown]
	ds_store_2addr_b64 v26, v[80:81], v[24:25] offset1:3
	ds_store_2addr_b64 v26, v[58:59], v[60:61] offset0:6 offset1:9
	ds_store_2addr_b64 v26, v[62:63], v[64:65] offset0:12 offset1:15
	;; [unrolled: 1-line block ×4, first 2 shown]
	ds_store_b64 v26, v[74:75] offset:240
.LBB0_9:
	s_wait_alu 0xfffe
	s_or_b32 exec_lo, exec_lo, s6
	global_wb scope:SCOPE_SE
	s_wait_dscnt 0x0
	s_barrier_signal -1
	s_barrier_wait -1
	global_inv scope:SCOPE_SE
	s_and_saveexec_b32 s6, vcc_lo
	s_cbranch_execz .LBB0_11
; %bb.10:
	ds_load_2addr_b64 v[12:15], v26 offset1:3
	ds_load_2addr_b64 v[16:19], v26 offset0:6 offset1:9
	ds_load_2addr_b64 v[20:23], v26 offset0:12 offset1:15
	;; [unrolled: 1-line block ×4, first 2 shown]
	ds_load_b64 v[37:38], v26 offset:240
.LBB0_11:
	s_wait_alu 0xfffe
	s_or_b32 exec_lo, exec_lo, s6
	global_wb scope:SCOPE_SE
	s_wait_dscnt 0x0
	s_barrier_signal -1
	s_barrier_wait -1
	global_inv scope:SCOPE_SE
	s_and_saveexec_b32 s6, vcc_lo
	s_cbranch_execz .LBB0_13
; %bb.12:
	v_dual_add_f32 v49, v38, v15 :: v_dual_add_f32 v50, v7, v17
	v_dual_sub_f32 v31, v14, v37 :: v_dual_add_f32 v28, v21, v11
	s_delay_alu instid0(VALU_DEP_2) | instskip(SKIP_3) | instid1(VALU_DEP_4)
	v_dual_sub_f32 v29, v16, v6 :: v_dual_mul_f32 v52, 0xbf75a155, v49
	v_dual_add_f32 v51, v5, v19 :: v_dual_sub_f32 v30, v18, v4
	v_sub_f32_e32 v53, v20, v10
	v_dual_mul_f32 v54, 0x3f575c64, v50 :: v_dual_sub_f32 v57, v17, v7
	v_fmamk_f32 v24, v31, 0x3e903f40, v52
	s_delay_alu instid0(VALU_DEP_4) | instskip(SKIP_1) | instid1(VALU_DEP_4)
	v_dual_sub_f32 v55, v15, v38 :: v_dual_mul_f32 v56, 0xbf27a4f4, v51
	v_add_f32_e32 v32, v37, v14
	v_dual_fmamk_f32 v25, v29, 0xbf0a6770, v54 :: v_dual_add_f32 v34, v6, v16
	s_delay_alu instid0(VALU_DEP_3) | instskip(NEXT) | instid1(VALU_DEP_4)
	v_dual_add_f32 v24, v13, v24 :: v_dual_fmamk_f32 v33, v30, 0x3f4178ce, v56
	v_mul_f32_e32 v59, 0xbe903f40, v55
	v_dual_mul_f32 v58, 0x3f68dda4, v53 :: v_dual_add_f32 v35, v4, v18
	s_delay_alu instid0(VALU_DEP_3) | instskip(NEXT) | instid1(VALU_DEP_3)
	v_dual_add_f32 v24, v25, v24 :: v_dual_mul_f32 v67, 0xbf27a4f4, v49
	v_dual_fmamk_f32 v25, v32, 0xbf75a155, v59 :: v_dual_sub_f32 v62, v22, v8
	s_delay_alu instid0(VALU_DEP_3) | instskip(NEXT) | instid1(VALU_DEP_3)
	v_fma_f32 v47, 0x3ed4b147, v28, -v58
	v_dual_add_f32 v24, v33, v24 :: v_dual_sub_f32 v61, v19, v5
	s_delay_alu instid0(VALU_DEP_3) | instskip(SKIP_1) | instid1(VALU_DEP_3)
	v_add_f32_e32 v25, v12, v25
	v_add_f32_e32 v33, v23, v9
	v_dual_mul_f32 v65, 0xbf7d64f0, v62 :: v_dual_add_f32 v24, v47, v24
	s_delay_alu instid0(VALU_DEP_4) | instskip(SKIP_1) | instid1(VALU_DEP_3)
	v_dual_mul_f32 v63, 0xbf4178ce, v61 :: v_dual_sub_f32 v64, v21, v11
	v_fmamk_f32 v69, v31, 0x3f4178ce, v67
	v_fma_f32 v47, 0xbe11bafb, v33, -v65
	v_mul_f32_e32 v60, 0x3f0a6770, v57
	v_dual_mul_f32 v70, 0xbe11bafb, v50 :: v_dual_add_f32 v71, v22, v8
	v_fmamk_f32 v48, v35, 0xbf27a4f4, v63
	v_mul_f32_e32 v80, 0xbe11bafb, v49
	s_delay_alu instid0(VALU_DEP_4) | instskip(SKIP_3) | instid1(VALU_DEP_4)
	v_fmamk_f32 v46, v34, 0x3f575c64, v60
	v_mul_f32_e32 v85, 0xbf7d64f0, v55
	v_mul_f32_e32 v74, 0xbe903f40, v53
	;; [unrolled: 1-line block ×3, first 2 shown]
	v_dual_fmac_f32 v52, 0xbe903f40, v31 :: v_dual_add_f32 v25, v46, v25
	v_add_f32_e32 v46, v20, v10
	v_fmamk_f32 v88, v32, 0xbe11bafb, v85
	v_fmamk_f32 v82, v31, 0x3f7d64f0, v80
	s_delay_alu instid0(VALU_DEP_4)
	v_dual_mul_f32 v83, 0xbf75a155, v50 :: v_dual_add_f32 v48, v48, v25
	v_add_f32_e32 v25, v47, v24
	v_add_f32_e32 v47, v13, v69
	v_mul_f32_e32 v69, 0x3f575c64, v51
	v_mul_f32_e32 v66, 0x3f68dda4, v64
	v_dual_mul_f32 v73, 0xbf4178ce, v55 :: v_dual_add_f32 v14, v14, v12
	v_dual_add_f32 v15, v15, v13 :: v_dual_fmac_f32 v56, 0xbf4178ce, v30
	s_delay_alu instid0(VALU_DEP_3) | instskip(NEXT) | instid1(VALU_DEP_3)
	v_fmamk_f32 v68, v46, 0x3ed4b147, v66
	v_fmamk_f32 v76, v32, 0xbf27a4f4, v73
	s_delay_alu instid0(VALU_DEP_4) | instskip(SKIP_1) | instid1(VALU_DEP_4)
	v_dual_add_f32 v14, v16, v14 :: v_dual_mul_f32 v89, 0x3e903f40, v57
	v_fmamk_f32 v16, v31, 0x3f68dda4, v91
	v_add_f32_e32 v24, v68, v48
	v_sub_f32_e32 v68, v23, v9
	v_fmamk_f32 v48, v29, 0xbf7d64f0, v70
	v_dual_mul_f32 v77, 0x3f7d64f0, v57 :: v_dual_add_f32 v14, v18, v14
	v_add_f32_e32 v16, v13, v16
	s_delay_alu instid0(VALU_DEP_4) | instskip(SKIP_1) | instid1(VALU_DEP_4)
	v_dual_mul_f32 v72, 0xbf7d64f0, v68 :: v_dual_add_f32 v15, v17, v15
	v_mul_f32_e32 v94, 0xbf4178ce, v57
	v_dual_add_f32 v14, v20, v14 :: v_dual_mul_f32 v57, 0xbf68dda4, v57
	s_delay_alu instid0(VALU_DEP_3) | instskip(SKIP_1) | instid1(VALU_DEP_3)
	v_dual_fmamk_f32 v75, v71, 0xbe11bafb, v72 :: v_dual_add_f32 v52, v13, v52
	v_fmac_f32_e32 v58, 0x3ed4b147, v28
	v_add_f32_e32 v22, v22, v14
	s_delay_alu instid0(VALU_DEP_4) | instskip(NEXT) | instid1(VALU_DEP_4)
	v_fmamk_f32 v98, v34, 0x3ed4b147, v57
	v_add_f32_e32 v24, v75, v24
	v_dual_add_f32 v75, v12, v76 :: v_dual_fmamk_f32 v76, v34, 0xbe11bafb, v77
	v_dual_add_f32 v47, v48, v47 :: v_dual_fmamk_f32 v48, v30, 0x3f0a6770, v69
	v_add_f32_e32 v8, v8, v22
	v_mul_f32_e32 v22, 0x3f575c64, v49
	v_mul_f32_e32 v49, 0x3ed4b147, v50
	v_fmac_f32_e32 v69, 0xbf0a6770, v30
	v_add_f32_e32 v47, v48, v47
	v_fma_f32 v48, 0xbf75a155, v28, -v74
	v_add_f32_e32 v10, v10, v8
	v_fmac_f32_e32 v54, 0x3f0a6770, v29
	s_delay_alu instid0(VALU_DEP_3) | instskip(SKIP_4) | instid1(VALU_DEP_3)
	v_dual_fmac_f32 v70, 0x3f7d64f0, v29 :: v_dual_add_f32 v47, v48, v47
	v_add_f32_e32 v48, v76, v75
	v_mul_f32_e32 v76, 0xbe903f40, v64
	v_mul_f32_e32 v79, 0x3f68dda4, v62
	v_add_f32_e32 v10, v4, v10
	v_fmamk_f32 v84, v46, 0xbf75a155, v76
	v_mul_f32_e32 v78, 0xbf0a6770, v61
	s_delay_alu instid0(VALU_DEP_4) | instskip(NEXT) | instid1(VALU_DEP_2)
	v_fma_f32 v81, 0x3ed4b147, v33, -v79
	v_dual_add_f32 v6, v6, v10 :: v_dual_fmamk_f32 v75, v35, 0x3f575c64, v78
	s_delay_alu instid0(VALU_DEP_1) | instskip(SKIP_1) | instid1(VALU_DEP_3)
	v_add_f32_e32 v6, v37, v6
	v_fma_f32 v37, 0xbe11bafb, v34, -v77
	v_dual_add_f32 v75, v75, v48 :: v_dual_add_f32 v48, v81, v47
	v_add_f32_e32 v47, v13, v82
	v_fmamk_f32 v81, v29, 0xbe903f40, v83
	v_fmac_f32_e32 v83, 0x3e903f40, v29
	s_delay_alu instid0(VALU_DEP_4) | instskip(SKIP_1) | instid1(VALU_DEP_4)
	v_dual_add_f32 v75, v84, v75 :: v_dual_mul_f32 v84, 0x3f68dda4, v68
	v_mul_f32_e32 v82, 0x3ed4b147, v51
	v_add_f32_e32 v47, v81, v47
	v_fmac_f32_e32 v67, 0xbf4178ce, v31
	v_fmac_f32_e32 v74, 0xbf75a155, v28
	v_fmamk_f32 v87, v71, 0x3ed4b147, v84
	v_fmamk_f32 v81, v30, 0xbf68dda4, v82
	s_delay_alu instid0(VALU_DEP_1) | instskip(NEXT) | instid1(VALU_DEP_3)
	v_dual_fmac_f32 v82, 0x3f68dda4, v30 :: v_dual_add_f32 v81, v81, v47
	v_add_f32_e32 v47, v87, v75
	v_add_f32_e32 v75, v12, v88
	v_fmamk_f32 v87, v34, 0xbf75a155, v89
	v_mul_f32_e32 v86, 0xbf0a6770, v53
	v_mul_f32_e32 v88, 0x3f68dda4, v61
	v_fmac_f32_e32 v80, 0xbf7d64f0, v31
	s_delay_alu instid0(VALU_DEP_4) | instskip(NEXT) | instid1(VALU_DEP_4)
	v_add_f32_e32 v75, v87, v75
	v_fma_f32 v90, 0x3f575c64, v28, -v86
	s_delay_alu instid0(VALU_DEP_4) | instskip(SKIP_1) | instid1(VALU_DEP_3)
	v_fmamk_f32 v87, v35, 0x3ed4b147, v88
	v_mul_f32_e32 v92, 0xbf0a6770, v64
	v_dual_fmac_f32 v86, 0x3f575c64, v28 :: v_dual_add_f32 v81, v90, v81
	s_delay_alu instid0(VALU_DEP_3) | instskip(NEXT) | instid1(VALU_DEP_3)
	v_dual_add_f32 v17, v87, v75 :: v_dual_mul_f32 v90, 0xbf4178ce, v62
	v_dual_add_f32 v15, v19, v15 :: v_dual_fmamk_f32 v18, v46, 0x3f575c64, v92
	v_mul_f32_e32 v87, 0xbf4178ce, v68
	v_mul_f32_e32 v75, 0xbf27a4f4, v50
	s_delay_alu instid0(VALU_DEP_4) | instskip(NEXT) | instid1(VALU_DEP_4)
	v_fma_f32 v93, 0xbf27a4f4, v33, -v90
	v_add_f32_e32 v15, v21, v15
	v_dual_add_f32 v17, v18, v17 :: v_dual_mul_f32 v18, 0xbf68dda4, v55
	v_mul_f32_e32 v20, 0xbf75a155, v51
	v_fmamk_f32 v14, v71, 0xbf27a4f4, v87
	v_fmamk_f32 v19, v29, 0x3f4178ce, v75
	v_add_f32_e32 v21, v23, v15
	v_mul_f32_e32 v51, 0xbe11bafb, v51
	v_mul_f32_e32 v95, 0x3f7d64f0, v53
	s_delay_alu instid0(VALU_DEP_4)
	v_dual_fmamk_f32 v23, v32, 0x3ed4b147, v18 :: v_dual_add_f32 v16, v19, v16
	v_add_f32_e32 v15, v93, v81
	v_mul_f32_e32 v93, 0x3e903f40, v61
	v_dual_add_f32 v9, v9, v21 :: v_dual_fmamk_f32 v96, v30, 0x3f7d64f0, v51
	v_fma_f32 v8, 0xbe11bafb, v28, -v95
	v_fmamk_f32 v19, v30, 0xbe903f40, v20
	v_mul_f32_e32 v53, 0xbf4178ce, v53
	v_add_f32_e32 v23, v12, v23
	v_add_f32_e32 v11, v11, v9
	v_fmamk_f32 v9, v31, 0x3f0a6770, v22
	v_dual_add_f32 v16, v19, v16 :: v_dual_mul_f32 v55, 0xbf0a6770, v55
	v_add_f32_e32 v14, v14, v17
	s_delay_alu instid0(VALU_DEP_3) | instskip(NEXT) | instid1(VALU_DEP_3)
	v_dual_mul_f32 v50, 0x3f0a6770, v68 :: v_dual_add_f32 v9, v13, v9
	v_add_f32_e32 v8, v8, v16
	v_fmamk_f32 v16, v29, 0x3f68dda4, v49
	v_fmamk_f32 v81, v34, 0xbf27a4f4, v94
	v_dual_mul_f32 v68, 0xbe903f40, v68 :: v_dual_add_f32 v11, v5, v11
	v_fmac_f32_e32 v75, 0xbf4178ce, v29
	s_delay_alu instid0(VALU_DEP_4) | instskip(SKIP_3) | instid1(VALU_DEP_4)
	v_add_f32_e32 v16, v16, v9
	v_fmamk_f32 v9, v32, 0x3f575c64, v55
	v_add_f32_e32 v17, v81, v23
	v_fmamk_f32 v19, v35, 0xbf75a155, v93
	v_dual_fmamk_f32 v81, v71, 0x3f575c64, v50 :: v_dual_add_f32 v16, v96, v16
	s_delay_alu instid0(VALU_DEP_4) | instskip(SKIP_1) | instid1(VALU_DEP_4)
	v_add_f32_e32 v97, v12, v9
	v_mul_f32_e32 v21, 0x3f7d64f0, v64
	v_dual_add_f32 v17, v19, v17 :: v_dual_mul_f32 v64, 0xbf4178ce, v64
	s_delay_alu instid0(VALU_DEP_3) | instskip(NEXT) | instid1(VALU_DEP_3)
	v_dual_add_f32 v7, v7, v11 :: v_dual_add_f32 v96, v98, v97
	v_fmamk_f32 v19, v46, 0xbe11bafb, v21
	v_fma_f32 v11, 0xbf75a155, v32, -v59
	v_fmac_f32_e32 v95, 0xbe11bafb, v28
	v_fmac_f32_e32 v91, 0xbf68dda4, v31
	;; [unrolled: 1-line block ×3, first 2 shown]
	v_add_f32_e32 v17, v19, v17
	v_mul_f32_e32 v23, 0x3f0a6770, v62
	v_dual_mul_f32 v62, 0xbe903f40, v62 :: v_dual_add_f32 v11, v12, v11
	v_fma_f32 v18, 0x3ed4b147, v32, -v18
	v_fmac_f32_e32 v51, 0xbf7d64f0, v30
	s_delay_alu instid0(VALU_DEP_4) | instskip(SKIP_3) | instid1(VALU_DEP_4)
	v_fma_f32 v19, 0x3f575c64, v33, -v23
	v_fma_f32 v21, 0xbe11bafb, v46, -v21
	v_fmac_f32_e32 v90, 0xbf27a4f4, v33
	v_fmac_f32_e32 v20, 0x3e903f40, v30
	v_dual_fmac_f32 v22, 0xbf0a6770, v31 :: v_dual_add_f32 v9, v19, v8
	v_fma_f32 v19, 0xbf27a4f4, v28, -v53
	v_add_f32_e32 v8, v81, v17
	v_fma_f32 v81, 0xbf75a155, v33, -v62
	v_fmac_f32_e32 v23, 0x3f575c64, v33
	v_fmac_f32_e32 v53, 0xbf27a4f4, v28
	v_dual_add_f32 v16, v19, v16 :: v_dual_fmamk_f32 v19, v46, 0xbf27a4f4, v64
	v_fma_f32 v28, 0x3f575c64, v71, -v50
	s_delay_alu instid0(VALU_DEP_2) | instskip(SKIP_1) | instid1(VALU_DEP_1)
	v_dual_fmac_f32 v62, 0xbf75a155, v33 :: v_dual_add_f32 v5, v81, v16
	v_fma_f32 v16, 0x3f575c64, v34, -v60
	v_dual_mul_f32 v61, 0xbf7d64f0, v61 :: v_dual_add_f32 v16, v16, v11
	s_delay_alu instid0(VALU_DEP_1) | instskip(NEXT) | instid1(VALU_DEP_1)
	v_fmamk_f32 v97, v35, 0xbe11bafb, v61
	v_add_f32_e32 v17, v97, v96
	s_delay_alu instid0(VALU_DEP_1) | instskip(SKIP_2) | instid1(VALU_DEP_2)
	v_add_f32_e32 v17, v19, v17
	v_dual_add_f32 v19, v54, v52 :: v_dual_fmamk_f32 v52, v71, 0xbf75a155, v68
	v_fma_f32 v54, 0xbf75a155, v34, -v89
	v_add_f32_e32 v10, v56, v19
	s_delay_alu instid0(VALU_DEP_3) | instskip(SKIP_2) | instid1(VALU_DEP_4)
	v_dual_add_f32 v19, v13, v67 :: v_dual_add_f32 v4, v52, v17
	v_fma_f32 v17, 0xbf27a4f4, v35, -v63
	v_fma_f32 v31, 0x3f575c64, v32, -v55
	v_add_f32_e32 v10, v58, v10
	s_delay_alu instid0(VALU_DEP_3) | instskip(SKIP_1) | instid1(VALU_DEP_2)
	v_dual_add_f32 v19, v70, v19 :: v_dual_add_f32 v16, v17, v16
	v_fma_f32 v17, 0x3ed4b147, v46, -v66
	v_add_f32_e32 v19, v69, v19
	s_delay_alu instid0(VALU_DEP_2) | instskip(SKIP_2) | instid1(VALU_DEP_3)
	v_dual_fmac_f32 v65, 0xbe11bafb, v33 :: v_dual_add_f32 v16, v17, v16
	v_fma_f32 v17, 0xbe11bafb, v71, -v72
	v_add_f32_e32 v7, v38, v7
	v_add_f32_e32 v11, v65, v10
	v_fma_f32 v10, 0xbf27a4f4, v32, -v73
	v_fma_f32 v38, 0x3f575c64, v35, -v78
	s_delay_alu instid0(VALU_DEP_2) | instskip(NEXT) | instid1(VALU_DEP_1)
	v_add_f32_e32 v10, v12, v10
	v_add_f32_e32 v37, v37, v10
	v_add_f32_e32 v10, v17, v16
	v_add_f32_e32 v16, v74, v19
	s_delay_alu instid0(VALU_DEP_3) | instskip(SKIP_1) | instid1(VALU_DEP_3)
	v_add_f32_e32 v19, v38, v37
	v_fma_f32 v37, 0xbf75a155, v46, -v76
	v_add_f32_e32 v17, v79, v16
	v_fma_f32 v16, 0xbe11bafb, v32, -v85
	v_add_f32_e32 v38, v13, v80
	s_delay_alu instid0(VALU_DEP_4) | instskip(SKIP_1) | instid1(VALU_DEP_4)
	v_add_f32_e32 v19, v37, v19
	v_fma_f32 v37, 0x3ed4b147, v71, -v84
	v_add_f32_e32 v52, v12, v16
	s_delay_alu instid0(VALU_DEP_1) | instskip(SKIP_2) | instid1(VALU_DEP_2)
	v_dual_add_f32 v16, v37, v19 :: v_dual_add_f32 v37, v54, v52
	v_add_f32_e32 v52, v13, v91
	v_fma_f32 v54, 0xbf27a4f4, v34, -v94
	v_add_f32_e32 v52, v75, v52
	s_delay_alu instid0(VALU_DEP_1) | instskip(SKIP_4) | instid1(VALU_DEP_4)
	v_add_f32_e32 v20, v20, v52
	v_add_f32_e32 v38, v83, v38
	v_add_f32_e32 v52, v12, v18
	v_dual_add_f32 v12, v12, v31 :: v_dual_add_f32 v13, v13, v22
	v_fma_f32 v22, 0x3ed4b147, v34, -v57
	v_add_f32_e32 v19, v82, v38
	v_fma_f32 v38, 0x3ed4b147, v35, -v88
	v_add_f32_e32 v20, v95, v20
	;; [unrolled: 2-line block ×3, first 2 shown]
	v_fma_f32 v22, 0xbe11bafb, v35, -v61
	v_dual_fmac_f32 v49, 0xbf68dda4, v29 :: v_dual_add_f32 v32, v54, v52
	s_delay_alu instid0(VALU_DEP_2) | instskip(SKIP_1) | instid1(VALU_DEP_1)
	v_add_f32_e32 v12, v22, v12
	v_fma_f32 v22, 0xbf27a4f4, v46, -v64
	v_dual_add_f32 v13, v49, v13 :: v_dual_add_f32 v22, v22, v12
	v_add_f32_e32 v37, v38, v37
	v_fma_f32 v38, 0x3f575c64, v46, -v92
	s_delay_alu instid0(VALU_DEP_3) | instskip(NEXT) | instid1(VALU_DEP_1)
	v_add_f32_e32 v13, v51, v13
	v_dual_add_f32 v19, v86, v19 :: v_dual_add_f32 v30, v53, v13
	v_add_f32_e32 v13, v23, v20
	s_delay_alu instid0(VALU_DEP_4) | instskip(SKIP_1) | instid1(VALU_DEP_4)
	v_dual_add_f32 v20, v31, v22 :: v_dual_add_f32 v37, v38, v37
	v_fma_f32 v38, 0xbf27a4f4, v71, -v87
	v_add_f32_e32 v19, v90, v19
	s_delay_alu instid0(VALU_DEP_2) | instskip(SKIP_1) | instid1(VALU_DEP_1)
	v_add_f32_e32 v18, v38, v37
	v_fma_f32 v37, 0xbf75a155, v35, -v93
	v_add_f32_e32 v29, v37, v32
	s_delay_alu instid0(VALU_DEP_1) | instskip(SKIP_1) | instid1(VALU_DEP_2)
	v_add_f32_e32 v21, v21, v29
	v_and_b32_e32 v29, 0xffff, v45
	v_add_f32_e32 v12, v28, v21
	s_delay_alu instid0(VALU_DEP_2)
	v_lshl_add_u32 v29, v29, 3, v44
	v_add_f32_e32 v21, v62, v30
	ds_store_2addr_b64 v29, v[6:7], v[4:5] offset1:1
	ds_store_2addr_b64 v29, v[8:9], v[14:15] offset0:2 offset1:3
	ds_store_2addr_b64 v29, v[47:48], v[24:25] offset0:4 offset1:5
	;; [unrolled: 1-line block ×4, first 2 shown]
	ds_store_b64 v29, v[20:21] offset:80
.LBB0_13:
	s_wait_alu 0xfffe
	s_or_b32 exec_lo, exec_lo, s6
	global_wb scope:SCOPE_SE
	s_wait_dscnt 0x0
	s_barrier_signal -1
	s_barrier_wait -1
	global_inv scope:SCOPE_SE
	ds_load_2addr_b64 v[4:7], v27 offset1:11
	ds_load_b64 v[8:9], v27 offset:176
	s_wait_dscnt 0x0
	v_dual_mul_f32 v10, v1, v7 :: v_dual_mul_f32 v11, v3, v9
	s_delay_alu instid0(VALU_DEP_1) | instskip(NEXT) | instid1(VALU_DEP_2)
	v_dual_mul_f32 v3, v3, v8 :: v_dual_fmac_f32 v10, v0, v6
	v_fmac_f32_e32 v11, v2, v8
	s_delay_alu instid0(VALU_DEP_2) | instskip(SKIP_1) | instid1(VALU_DEP_4)
	v_fma_f32 v3, v2, v9, -v3
	v_mul_f32_e32 v1, v1, v6
	v_add_f32_e32 v2, v4, v10
	s_delay_alu instid0(VALU_DEP_2) | instskip(NEXT) | instid1(VALU_DEP_1)
	v_fma_f32 v0, v0, v7, -v1
	v_dual_add_f32 v1, v10, v11 :: v_dual_add_f32 v8, v5, v0
	v_add_f32_e32 v6, v0, v3
	v_sub_f32_e32 v7, v0, v3
	s_delay_alu instid0(VALU_DEP_3) | instskip(SKIP_3) | instid1(VALU_DEP_4)
	v_fma_f32 v0, -0.5, v1, v4
	v_sub_f32_e32 v9, v10, v11
	v_add_f32_e32 v3, v8, v3
	v_fma_f32 v1, -0.5, v6, v5
	v_fmamk_f32 v4, v7, 0xbf5db3d7, v0
	v_add_f32_e32 v2, v2, v11
	s_delay_alu instid0(VALU_DEP_3)
	v_dual_fmac_f32 v0, 0x3f5db3d7, v7 :: v_dual_fmamk_f32 v5, v9, 0x3f5db3d7, v1
	v_fmac_f32_e32 v1, 0xbf5db3d7, v9
	ds_store_2addr_b64 v26, v[2:3], v[4:5] offset1:11
	ds_store_b64 v26, v[0:1] offset:176
	global_wb scope:SCOPE_SE
	s_wait_dscnt 0x0
	s_barrier_signal -1
	s_barrier_wait -1
	global_inv scope:SCOPE_SE
	s_and_b32 exec_lo, exec_lo, vcc_lo
	s_cbranch_execz .LBB0_15
; %bb.14:
	s_clause 0xa
	global_load_b64 v[20:21], v43, s[12:13]
	global_load_b64 v[22:23], v43, s[12:13] offset:24
	global_load_b64 v[24:25], v43, s[12:13] offset:48
	;; [unrolled: 1-line block ×10, first 2 shown]
	v_mad_co_u64_u32 v[12:13], null, s2, v36, 0
	v_mad_co_u64_u32 v[50:51], null, s0, v41, 0
	v_lshl_add_u32 v16, v42, 3, v43
	s_mov_b32 s6, 0xf07c1f08
	s_mov_b32 s7, 0x3f9f07c1
	s_delay_alu instid0(VALU_DEP_3) | instskip(NEXT) | instid1(VALU_DEP_3)
	v_mov_b32_e32 v0, v13
	v_mov_b32_e32 v4, v51
	s_delay_alu instid0(VALU_DEP_2) | instskip(NEXT) | instid1(VALU_DEP_2)
	v_mad_co_u64_u32 v[8:9], null, s3, v36, v[0:1]
	v_mad_co_u64_u32 v[14:15], null, s1, v41, v[4:5]
	ds_load_b64 v[35:36], v26
	ds_load_2addr_b64 v[0:3], v16 offset0:3 offset1:6
	ds_load_2addr_b64 v[4:7], v16 offset0:9 offset1:12
	s_mul_u64 s[2:3], s[0:1], 24
	v_mov_b32_e32 v13, v8
	ds_load_2addr_b64 v[8:11], v16 offset0:15 offset1:18
	v_mov_b32_e32 v51, v14
	v_lshlrev_b64_e32 v[41:42], 3, v[12:13]
	ds_load_2addr_b64 v[12:15], v16 offset0:21 offset1:24
	ds_load_2addr_b64 v[16:19], v16 offset0:27 offset1:30
	v_lshlrev_b64_e32 v[50:51], 3, v[50:51]
	v_add_co_u32 v61, vcc_lo, s4, v41
	v_add_co_ci_u32_e32 v62, vcc_lo, s5, v42, vcc_lo
	s_mul_i32 s4, s1, 48
	s_wait_loadcnt_dscnt 0x904
	v_dual_mul_f32 v26, v36, v21 :: v_dual_mul_f32 v41, v1, v23
	v_mul_f32_e32 v21, v35, v21
	s_wait_loadcnt 0x8
	v_dual_mul_f32 v23, v0, v23 :: v_dual_mul_f32 v42, v3, v25
	s_wait_loadcnt_dscnt 0x603
	v_dual_mul_f32 v25, v2, v25 :: v_dual_mul_f32 v52, v7, v30
	v_dual_mul_f32 v43, v5, v28 :: v_dual_mul_f32 v30, v6, v30
	v_mul_f32_e32 v28, v4, v28
	s_wait_loadcnt_dscnt 0x402
	v_dual_mul_f32 v53, v9, v32 :: v_dual_mul_f32 v54, v11, v34
	s_wait_loadcnt_dscnt 0x301
	v_dual_mul_f32 v32, v8, v32 :: v_dual_mul_f32 v55, v13, v38
	s_wait_loadcnt_dscnt 0x0
	v_dual_mul_f32 v58, v19, v49 :: v_dual_fmac_f32 v41, v0, v22
	v_dual_mul_f32 v49, v18, v49 :: v_dual_fmac_f32 v26, v35, v20
	v_fma_f32 v20, v20, v36, -v21
	v_dual_mul_f32 v34, v10, v34 :: v_dual_mul_f32 v57, v17, v47
	v_fma_f32 v21, v22, v1, -v23
	v_mul_f32_e32 v38, v12, v38
	v_dual_fmac_f32 v42, v2, v24 :: v_dual_fmac_f32 v43, v4, v27
	v_fma_f32 v22, v24, v3, -v25
	v_dual_mul_f32 v56, v15, v45 :: v_dual_mul_f32 v47, v16, v47
	v_mul_f32_e32 v45, v14, v45
	v_fma_f32 v23, v27, v5, -v28
	v_dual_fmac_f32 v52, v6, v29 :: v_dual_fmac_f32 v53, v8, v31
	v_fma_f32 v24, v29, v7, -v30
	v_fma_f32 v25, v31, v9, -v32
	v_cvt_f64_f32_e32 v[0:1], v26
	v_cvt_f64_f32_e32 v[2:3], v20
	v_dual_fmac_f32 v54, v10, v33 :: v_dual_fmac_f32 v57, v16, v46
	v_fma_f32 v27, v33, v11, -v34
	v_cvt_f64_f32_e32 v[4:5], v41
	v_cvt_f64_f32_e32 v[6:7], v21
	v_dual_fmac_f32 v55, v12, v37 :: v_dual_fmac_f32 v56, v14, v44
	v_fma_f32 v30, v37, v13, -v38
	v_cvt_f64_f32_e32 v[8:9], v42
	v_cvt_f64_f32_e32 v[10:11], v22
	v_fma_f32 v34, v44, v15, -v45
	v_cvt_f64_f32_e32 v[12:13], v43
	v_cvt_f64_f32_e32 v[14:15], v23
	v_fma_f32 v38, v46, v17, -v47
	v_fmac_f32_e32 v58, v18, v48
	v_fma_f32 v45, v48, v19, -v49
	v_cvt_f64_f32_e32 v[16:17], v52
	v_cvt_f64_f32_e32 v[18:19], v24
	;; [unrolled: 1-line block ×14, first 2 shown]
	v_add_co_u32 v47, vcc_lo, v61, v50
	s_wait_alu 0xfffd
	v_add_co_ci_u32_e32 v48, vcc_lo, v62, v51, vcc_lo
	v_mad_co_u64_u32 v[49:50], null, s0, v39, 0
	s_wait_alu 0xfffe
	v_mul_f64_e32 v[0:1], s[6:7], v[0:1]
	v_mul_f64_e32 v[2:3], s[6:7], v[2:3]
	v_add_co_u32 v51, vcc_lo, v47, s2
	s_wait_alu 0xfffd
	v_add_co_ci_u32_e32 v52, vcc_lo, s3, v48, vcc_lo
	v_mul_f64_e32 v[4:5], s[6:7], v[4:5]
	v_mul_f64_e32 v[6:7], s[6:7], v[6:7]
	v_add_co_u32 v55, vcc_lo, v51, s2
	v_mul_f64_e32 v[8:9], s[6:7], v[8:9]
	v_mul_f64_e32 v[10:11], s[6:7], v[10:11]
	s_wait_alu 0xfffd
	v_add_co_ci_u32_e32 v56, vcc_lo, s3, v52, vcc_lo
	v_mul_f64_e32 v[12:13], s[6:7], v[12:13]
	v_mul_f64_e32 v[14:15], s[6:7], v[14:15]
	v_add_co_u32 v57, vcc_lo, v55, s2
	v_mul_f64_e32 v[16:17], s[6:7], v[16:17]
	v_mul_f64_e32 v[18:19], s[6:7], v[18:19]
	;; [unrolled: 1-line block ×14, first 2 shown]
	s_wait_alu 0xfffd
	v_add_co_ci_u32_e32 v58, vcc_lo, s3, v56, vcc_lo
	v_mad_co_u64_u32 v[53:54], null, s0, v40, 0
	v_mov_b32_e32 v38, v50
	s_delay_alu instid0(VALU_DEP_3) | instskip(SKIP_2) | instid1(VALU_DEP_4)
	v_mad_co_u64_u32 v[59:60], null, s0, 48, v[57:58]
	v_cvt_f32_f64_e32 v0, v[0:1]
	v_cvt_f32_f64_e32 v1, v[2:3]
	v_mad_co_u64_u32 v[38:39], null, s1, v39, v[38:39]
	v_mov_b32_e32 v50, v54
	v_cvt_f32_f64_e32 v2, v[4:5]
	v_cvt_f32_f64_e32 v3, v[6:7]
	v_add_nc_u32_e32 v60, s4, v60
	v_cvt_f32_f64_e32 v4, v[8:9]
	v_cvt_f32_f64_e32 v5, v[10:11]
	v_mad_co_u64_u32 v[39:40], null, s1, v40, v[50:51]
	v_cvt_f32_f64_e32 v6, v[12:13]
	v_cvt_f32_f64_e32 v7, v[14:15]
	v_mov_b32_e32 v50, v38
	v_cvt_f32_f64_e32 v8, v[16:17]
	v_cvt_f32_f64_e32 v9, v[18:19]
	;; [unrolled: 1-line block ×14, first 2 shown]
	v_add_co_u32 v22, vcc_lo, v59, s2
	s_wait_alu 0xfffd
	v_add_co_ci_u32_e32 v23, vcc_lo, s3, v60, vcc_lo
	v_mov_b32_e32 v54, v39
	s_delay_alu instid0(VALU_DEP_3) | instskip(SKIP_1) | instid1(VALU_DEP_3)
	v_add_co_u32 v24, vcc_lo, v22, s2
	s_wait_alu 0xfffd
	v_add_co_ci_u32_e32 v25, vcc_lo, s3, v23, vcc_lo
	v_lshlrev_b64_e32 v[26:27], 3, v[49:50]
	v_lshlrev_b64_e32 v[30:31], 3, v[53:54]
	s_delay_alu instid0(VALU_DEP_3) | instskip(NEXT) | instid1(VALU_DEP_3)
	v_mad_co_u64_u32 v[28:29], null, s0, 48, v[24:25]
	v_add_co_u32 v26, vcc_lo, v61, v26
	s_wait_alu 0xfffd
	s_delay_alu instid0(VALU_DEP_4) | instskip(NEXT) | instid1(VALU_DEP_4)
	v_add_co_ci_u32_e32 v27, vcc_lo, v62, v27, vcc_lo
	v_add_co_u32 v30, vcc_lo, v61, v30
	s_delay_alu instid0(VALU_DEP_4)
	v_add_nc_u32_e32 v29, s4, v29
	s_wait_alu 0xfffd
	v_add_co_ci_u32_e32 v31, vcc_lo, v62, v31, vcc_lo
	v_add_co_u32 v32, vcc_lo, v28, s2
	s_wait_alu 0xfffd
	v_add_co_ci_u32_e32 v33, vcc_lo, s3, v29, vcc_lo
	s_clause 0x5
	global_store_b64 v[47:48], v[0:1], off
	global_store_b64 v[51:52], v[2:3], off
	;; [unrolled: 1-line block ×11, first 2 shown]
.LBB0_15:
	s_nop 0
	s_sendmsg sendmsg(MSG_DEALLOC_VGPRS)
	s_endpgm
	.section	.rodata,"a",@progbits
	.p2align	6, 0x0
	.amdhsa_kernel bluestein_single_back_len33_dim1_sp_op_CI_CI
		.amdhsa_group_segment_fixed_size 6072
		.amdhsa_private_segment_fixed_size 0
		.amdhsa_kernarg_size 104
		.amdhsa_user_sgpr_count 2
		.amdhsa_user_sgpr_dispatch_ptr 0
		.amdhsa_user_sgpr_queue_ptr 0
		.amdhsa_user_sgpr_kernarg_segment_ptr 1
		.amdhsa_user_sgpr_dispatch_id 0
		.amdhsa_user_sgpr_private_segment_size 0
		.amdhsa_wavefront_size32 1
		.amdhsa_uses_dynamic_stack 0
		.amdhsa_enable_private_segment 0
		.amdhsa_system_sgpr_workgroup_id_x 1
		.amdhsa_system_sgpr_workgroup_id_y 0
		.amdhsa_system_sgpr_workgroup_id_z 0
		.amdhsa_system_sgpr_workgroup_info 0
		.amdhsa_system_vgpr_workitem_id 0
		.amdhsa_next_free_vgpr 99
		.amdhsa_next_free_sgpr 14
		.amdhsa_reserve_vcc 1
		.amdhsa_float_round_mode_32 0
		.amdhsa_float_round_mode_16_64 0
		.amdhsa_float_denorm_mode_32 3
		.amdhsa_float_denorm_mode_16_64 3
		.amdhsa_fp16_overflow 0
		.amdhsa_workgroup_processor_mode 1
		.amdhsa_memory_ordered 1
		.amdhsa_forward_progress 0
		.amdhsa_round_robin_scheduling 0
		.amdhsa_exception_fp_ieee_invalid_op 0
		.amdhsa_exception_fp_denorm_src 0
		.amdhsa_exception_fp_ieee_div_zero 0
		.amdhsa_exception_fp_ieee_overflow 0
		.amdhsa_exception_fp_ieee_underflow 0
		.amdhsa_exception_fp_ieee_inexact 0
		.amdhsa_exception_int_div_zero 0
	.end_amdhsa_kernel
	.text
.Lfunc_end0:
	.size	bluestein_single_back_len33_dim1_sp_op_CI_CI, .Lfunc_end0-bluestein_single_back_len33_dim1_sp_op_CI_CI
                                        ; -- End function
	.section	.AMDGPU.csdata,"",@progbits
; Kernel info:
; codeLenInByte = 8160
; NumSgprs: 16
; NumVgprs: 99
; ScratchSize: 0
; MemoryBound: 0
; FloatMode: 240
; IeeeMode: 1
; LDSByteSize: 6072 bytes/workgroup (compile time only)
; SGPRBlocks: 1
; VGPRBlocks: 12
; NumSGPRsForWavesPerEU: 16
; NumVGPRsForWavesPerEU: 99
; Occupancy: 12
; WaveLimiterHint : 1
; COMPUTE_PGM_RSRC2:SCRATCH_EN: 0
; COMPUTE_PGM_RSRC2:USER_SGPR: 2
; COMPUTE_PGM_RSRC2:TRAP_HANDLER: 0
; COMPUTE_PGM_RSRC2:TGID_X_EN: 1
; COMPUTE_PGM_RSRC2:TGID_Y_EN: 0
; COMPUTE_PGM_RSRC2:TGID_Z_EN: 0
; COMPUTE_PGM_RSRC2:TIDIG_COMP_CNT: 0
	.text
	.p2alignl 7, 3214868480
	.fill 96, 4, 3214868480
	.type	__hip_cuid_b3b7c3d72c795c1e,@object ; @__hip_cuid_b3b7c3d72c795c1e
	.section	.bss,"aw",@nobits
	.globl	__hip_cuid_b3b7c3d72c795c1e
__hip_cuid_b3b7c3d72c795c1e:
	.byte	0                               ; 0x0
	.size	__hip_cuid_b3b7c3d72c795c1e, 1

	.ident	"AMD clang version 19.0.0git (https://github.com/RadeonOpenCompute/llvm-project roc-6.4.0 25133 c7fe45cf4b819c5991fe208aaa96edf142730f1d)"
	.section	".note.GNU-stack","",@progbits
	.addrsig
	.addrsig_sym __hip_cuid_b3b7c3d72c795c1e
	.amdgpu_metadata
---
amdhsa.kernels:
  - .args:
      - .actual_access:  read_only
        .address_space:  global
        .offset:         0
        .size:           8
        .value_kind:     global_buffer
      - .actual_access:  read_only
        .address_space:  global
        .offset:         8
        .size:           8
        .value_kind:     global_buffer
      - .actual_access:  read_only
        .address_space:  global
        .offset:         16
        .size:           8
        .value_kind:     global_buffer
      - .actual_access:  read_only
        .address_space:  global
        .offset:         24
        .size:           8
        .value_kind:     global_buffer
      - .actual_access:  read_only
        .address_space:  global
        .offset:         32
        .size:           8
        .value_kind:     global_buffer
      - .offset:         40
        .size:           8
        .value_kind:     by_value
      - .address_space:  global
        .offset:         48
        .size:           8
        .value_kind:     global_buffer
      - .address_space:  global
        .offset:         56
        .size:           8
        .value_kind:     global_buffer
      - .address_space:  global
        .offset:         64
        .size:           8
        .value_kind:     global_buffer
      - .address_space:  global
        .offset:         72
        .size:           8
        .value_kind:     global_buffer
      - .offset:         80
        .size:           4
        .value_kind:     by_value
      - .address_space:  global
        .offset:         88
        .size:           8
        .value_kind:     global_buffer
      - .address_space:  global
        .offset:         96
        .size:           8
        .value_kind:     global_buffer
    .group_segment_fixed_size: 6072
    .kernarg_segment_align: 8
    .kernarg_segment_size: 104
    .language:       OpenCL C
    .language_version:
      - 2
      - 0
    .max_flat_workgroup_size: 253
    .name:           bluestein_single_back_len33_dim1_sp_op_CI_CI
    .private_segment_fixed_size: 0
    .sgpr_count:     16
    .sgpr_spill_count: 0
    .symbol:         bluestein_single_back_len33_dim1_sp_op_CI_CI.kd
    .uniform_work_group_size: 1
    .uses_dynamic_stack: false
    .vgpr_count:     99
    .vgpr_spill_count: 0
    .wavefront_size: 32
    .workgroup_processor_mode: 1
amdhsa.target:   amdgcn-amd-amdhsa--gfx1201
amdhsa.version:
  - 1
  - 2
...

	.end_amdgpu_metadata
